;; amdgpu-corpus repo=ROCm/rocFFT kind=compiled arch=gfx1201 opt=O3
	.text
	.amdgcn_target "amdgcn-amd-amdhsa--gfx1201"
	.amdhsa_code_object_version 6
	.protected	fft_rtc_fwd_len243_factors_3_3_3_3_3_wgs_216_tpt_27_dp_op_CI_CI_sbrc_z_xy_aligned_dirReg ; -- Begin function fft_rtc_fwd_len243_factors_3_3_3_3_3_wgs_216_tpt_27_dp_op_CI_CI_sbrc_z_xy_aligned_dirReg
	.globl	fft_rtc_fwd_len243_factors_3_3_3_3_3_wgs_216_tpt_27_dp_op_CI_CI_sbrc_z_xy_aligned_dirReg
	.p2align	8
	.type	fft_rtc_fwd_len243_factors_3_3_3_3_3_wgs_216_tpt_27_dp_op_CI_CI_sbrc_z_xy_aligned_dirReg,@function
fft_rtc_fwd_len243_factors_3_3_3_3_3_wgs_216_tpt_27_dp_op_CI_CI_sbrc_z_xy_aligned_dirReg: ; @fft_rtc_fwd_len243_factors_3_3_3_3_3_wgs_216_tpt_27_dp_op_CI_CI_sbrc_z_xy_aligned_dirReg
; %bb.0:
	s_load_b256 s[4:11], s[0:1], 0x0
	v_mul_u32_u24_e32 v1, 0x10e, v0
	v_add_nc_u16 v3, v0, 0xd8
	v_mov_b32_e32 v2, 0
	v_add_nc_u16 v4, v0, 0x1b0
	v_add_nc_u16 v6, v0, 0x360
	v_lshrrev_b32_e32 v43, 16, v1
	v_and_b32_e32 v1, 0xffff, v3
	v_add_nc_u16 v5, v0, 0x288
	v_and_b32_e32 v7, 0xffff, v4
	v_and_b32_e32 v9, 0xffff, v6
	v_mul_lo_u16 v10, 0xf3, v43
	v_mul_u32_u24_e32 v1, 0x10e, v1
	v_add_nc_u16 v21, v0, 0x438
	v_mul_u32_u24_e32 v7, 0x437, v7
	v_mul_u32_u24_e32 v9, 0x437, v9
	v_sub_nc_u16 v44, v0, v10
	v_lshrrev_b32_e32 v45, 16, v1
	v_add_nc_u16 v27, v0, 0x510
	v_lshrrev_b32_e32 v46, 18, v7
	s_wait_kmcnt 0x0
	s_load_b128 s[16:19], s[8:9], 0x8
	s_clause 0x1
	s_load_b128 s[12:15], s[0:1], 0x58
	s_load_b64 s[20:21], s[0:1], 0x20
	v_mul_lo_u16 v7, 0xf3, v45
	v_lshrrev_b32_e32 v48, 18, v9
	v_and_b32_e32 v13, 0xffff, v44
	s_mov_b32 s9, 0
	v_add_nc_u16 v29, v0, 0x5e8
	v_sub_nc_u16 v49, v3, v7
	v_mul_lo_u16 v10, 0xf3, v48
	s_wait_kmcnt 0x0
	s_mov_b32 s17, s9
	v_add_nc_u16 v30, v0, 0x6c0
	v_and_b32_e32 v15, 0xffff, v49
	v_sub_nc_u16 v52, v6, v10
	s_delay_alu instid0(VALU_DEP_1) | instskip(SKIP_1) | instid1(SALU_CYCLE_1)
	v_and_b32_e32 v22, 0xffff, v52
	s_add_co_i32 s0, s16, -1
	s_lshr_b32 s8, s0, 3
	s_delay_alu instid0(SALU_CYCLE_1) | instskip(NEXT) | instid1(SALU_CYCLE_1)
	s_add_co_i32 s19, s8, 1
	s_mul_i32 s18, s19, s18
	s_cvt_f32_u32 s22, s19
	s_cvt_f32_u32 s0, s18
	s_sub_co_i32 s23, 0, s18
	s_delay_alu instid0(SALU_CYCLE_1) | instskip(NEXT) | instid1(SALU_CYCLE_1)
	v_rcp_iflag_f32_e32 v7, s22
	v_rcp_iflag_f32_e32 v1, s0
	s_load_b128 s[0:3], s[10:11], 0x0
	s_wait_kmcnt 0x0
	s_load_b32 s3, s[10:11], 0x10
	s_delay_alu instid0(TRANS32_DEP_1) | instskip(NEXT) | instid1(VALU_DEP_1)
	v_readfirstlane_b32 s16, v1
	s_mul_f32 s16, s16, 0x4f7ffffe
	s_delay_alu instid0(SALU_CYCLE_3) | instskip(SKIP_1) | instid1(SALU_CYCLE_2)
	s_cvt_u32_f32 s16, s16
	v_mad_co_u64_u32 v[23:24], null, s0, v22, 0
	s_mul_i32 s23, s23, s16
	v_and_b32_e32 v8, 0xffff, v5
	s_wait_alu 0xfffe
	s_mul_hi_u32 s22, s16, s23
	v_readfirstlane_b32 s23, v7
	s_wait_alu 0xfffe
	s_add_co_i32 s16, s16, s22
	v_mul_lo_u32 v1, s2, v43
	s_mul_hi_u32 s16, ttmp9, s16
	v_mul_u32_u24_e32 v8, 0x437, v8
	s_mul_i32 s22, s16, s18
	s_add_co_i32 s24, s16, 1
	s_wait_alu 0xfffe
	s_sub_co_i32 s22, ttmp9, s22
	s_mul_f32 s23, s23, 0x4f7ffffe
	s_wait_alu 0xfffe
	s_sub_co_i32 s25, s22, s18
	s_cmp_ge_u32 s22, s18
	v_lshrrev_b32_e32 v47, 18, v8
	s_cselect_b32 s16, s24, s16
	s_cselect_b32 s22, s25, s22
	s_add_co_i32 s24, s16, 1
	s_wait_alu 0xfffe
	s_cmp_ge_u32 s22, s18
	s_cvt_u32_f32 s22, s23
	s_cselect_b32 s16, s24, s16
	s_not_b32 s8, s8
	s_mul_i32 s18, s16, s18
	s_wait_alu 0xfffe
	s_mul_i32 s8, s8, s22
	s_sub_co_i32 s18, ttmp9, s18
	s_mul_hi_u32 s8, s22, s8
	v_mul_lo_u16 v8, 0xf3, v46
	s_add_co_i32 s22, s22, s8
	v_mul_lo_u16 v9, 0xf3, v47
	s_wait_alu 0xfffe
	s_mul_hi_u32 s8, s18, s22
	s_mul_hi_u32 s22, ttmp9, s22
	s_mul_i32 s23, s8, s19
	s_wait_alu 0xfffe
	s_mul_i32 s22, s22, s19
	s_sub_co_i32 s18, s18, s23
	s_add_co_i32 s23, s8, 1
	s_sub_co_i32 s24, s18, s19
	s_cmp_ge_u32 s18, s19
	v_sub_nc_u16 v50, v4, v8
	s_wait_alu 0xfffe
	s_cselect_b32 s8, s23, s8
	s_cselect_b32 s18, s24, s18
	s_add_co_i32 s23, s8, 1
	s_cmp_ge_u32 s18, s19
	v_and_b32_e32 v16, 0xffff, v50
	s_wait_alu 0xfffe
	s_cselect_b32 s18, s23, s8
	s_sub_co_i32 s8, ttmp9, s22
	v_sub_nc_u16 v51, v5, v9
	s_sub_co_i32 s22, s8, s19
	s_cmp_ge_u32 s8, s19
	v_mad_co_u64_u32 v[3:4], null, s0, v13, 0
	s_wait_alu 0xfffe
	s_cselect_b32 s8, s22, s8
	v_mad_co_u64_u32 v[5:6], null, s0, v15, 0
	s_sub_co_i32 s22, s8, s19
	s_cmp_ge_u32 s8, s19
	v_mad_co_u64_u32 v[7:8], null, s0, v16, 0
	s_wait_alu 0xfffe
	s_cselect_b32 s8, s22, s8
	s_lshl_b64 s[6:7], s[6:7], 3
	v_and_b32_e32 v17, 0xffff, v51
	s_add_nc_u64 s[10:11], s[10:11], s[6:7]
	v_mad_co_u64_u32 v[13:14], null, s1, v13, v[4:5]
	s_load_b64 s[10:11], s[10:11], 0x0
	s_delay_alu instid0(VALU_DEP_2)
	v_mad_co_u64_u32 v[9:10], null, s0, v17, 0
	v_lshlrev_b64_e32 v[11:12], 4, v[1:2]
	v_mul_lo_u32 v1, s2, v45
	v_mad_co_u64_u32 v[14:15], null, s1, v15, v[6:7]
	v_mov_b32_e32 v4, v13
	s_lshl_b32 s19, s8, 3
	v_mad_co_u64_u32 v[15:16], null, s1, v16, v[8:9]
	v_mad_co_u64_u32 v[16:17], null, s1, v17, v[10:11]
	v_lshlrev_b64_e32 v[17:18], 4, v[1:2]
	v_mul_lo_u32 v1, s2, v46
	v_mov_b32_e32 v6, v14
	s_wait_kmcnt 0x0
	s_mul_i32 s3, s18, s3
	s_mul_i32 s8, s19, s2
	v_lshlrev_b64_e32 v[3:4], 4, v[3:4]
	s_wait_alu 0xfffe
	s_add_co_i32 s8, s8, s3
	s_mul_u64 s[10:11], s[10:11], s[16:17]
	s_lshl_b64 s[22:23], s[8:9], 4
	s_lshl_b64 s[10:11], s[10:11], 4
	v_lshlrev_b64_e32 v[5:6], 4, v[5:6]
	s_add_nc_u64 s[10:11], s[12:13], s[10:11]
	v_dual_mov_b32 v8, v15 :: v_dual_and_b32 v19, 0xffff, v21
	s_wait_alu 0xfffe
	s_add_nc_u64 s[10:11], s[10:11], s[22:23]
	v_mov_b32_e32 v10, v16
	v_lshlrev_b64_e32 v[15:16], 4, v[1:2]
	v_add_co_u32 v1, vcc_lo, s10, v3
	v_add_co_ci_u32_e32 v4, vcc_lo, s11, v4, vcc_lo
	v_add_co_u32 v5, vcc_lo, s10, v5
	s_wait_alu 0xfffd
	v_add_co_ci_u32_e32 v6, vcc_lo, s11, v6, vcc_lo
	v_add_co_u32 v3, vcc_lo, v1, v11
	v_lshlrev_b64_e32 v[7:8], 4, v[7:8]
	s_wait_alu 0xfffd
	v_add_co_ci_u32_e32 v4, vcc_lo, v4, v12, vcc_lo
	v_add_co_u32 v5, vcc_lo, v5, v17
	s_wait_alu 0xfffd
	v_add_co_ci_u32_e32 v6, vcc_lo, v6, v18, vcc_lo
	v_add_co_u32 v1, vcc_lo, s10, v7
	v_mul_u32_u24_e32 v25, 0x437, v19
	v_lshlrev_b64_e32 v[19:20], 4, v[9:10]
	s_wait_alu 0xfffd
	v_add_co_ci_u32_e32 v17, vcc_lo, s11, v8, vcc_lo
	s_clause 0x1
	global_load_b128 v[7:10], v[3:4], off
	global_load_b128 v[11:14], v[5:6], off
	v_lshrrev_b32_e32 v53, 18, v25
	v_add_co_u32 v3, vcc_lo, v1, v15
	v_mul_lo_u32 v1, s2, v47
	v_mov_b32_e32 v5, v24
	s_delay_alu instid0(VALU_DEP_4) | instskip(SKIP_3) | instid1(VALU_DEP_3)
	v_mul_lo_u16 v6, 0xf3, v53
	s_wait_alu 0xfffd
	v_add_co_ci_u32_e32 v4, vcc_lo, v17, v16, vcc_lo
	v_add_co_u32 v17, vcc_lo, s10, v19
	v_sub_nc_u16 v54, v21, v6
	v_lshlrev_b64_e32 v[15:16], 4, v[1:2]
	v_and_b32_e32 v1, 0xffff, v27
	v_mad_co_u64_u32 v[5:6], null, s1, v22, v[5:6]
	s_delay_alu instid0(VALU_DEP_4)
	v_and_b32_e32 v6, 0xffff, v54
	s_wait_alu 0xfffd
	v_add_co_ci_u32_e32 v18, vcc_lo, s11, v20, vcc_lo
	v_mul_u32_u24_e32 v28, 0x437, v1
	v_add_co_u32 v19, vcc_lo, v17, v15
	v_mad_co_u64_u32 v[25:26], null, s0, v6, 0
	v_mov_b32_e32 v24, v5
	s_delay_alu instid0(VALU_DEP_4)
	v_lshrrev_b32_e32 v55, 18, v28
	v_and_b32_e32 v28, 0xffff, v29
	s_wait_alu 0xfffd
	v_add_co_ci_u32_e32 v20, vcc_lo, v18, v16, vcc_lo
	s_clause 0x1
	global_load_b128 v[15:18], v[3:4], off
	global_load_b128 v[19:22], v[19:20], off
	v_lshlrev_b64_e32 v[3:4], 4, v[23:24]
	v_mov_b32_e32 v5, v26
	v_mul_u32_u24_e32 v24, 0x437, v28
	v_and_b32_e32 v26, 0xffff, v30
	v_mul_lo_u32 v1, s2, v48
	v_mul_lo_u16 v23, 0xf3, v55
	v_mad_co_u64_u32 v[5:6], null, s1, v6, v[5:6]
	v_lshrrev_b32_e32 v57, 18, v24
	v_mul_u32_u24_e32 v6, 0x437, v26
	s_delay_alu instid0(VALU_DEP_4)
	v_sub_nc_u16 v56, v27, v23
	v_add_co_u32 v23, vcc_lo, s10, v3
	s_wait_alu 0xfffd
	v_add_co_ci_u32_e32 v24, vcc_lo, s11, v4, vcc_lo
	v_lshlrev_b64_e32 v[3:4], 4, v[1:2]
	v_mul_lo_u16 v1, 0xf3, v57
	v_lshrrev_b32_e32 v58, 18, v6
	v_dual_mov_b32 v26, v5 :: v_dual_and_b32 v27, 0xffff, v56
	s_add_nc_u64 s[6:7], s[20:21], s[6:7]
	s_delay_alu instid0(VALU_DEP_3) | instskip(NEXT) | instid1(VALU_DEP_3)
	v_sub_nc_u16 v59, v29, v1
	v_mul_lo_u16 v1, 0xf3, v58
	s_delay_alu instid0(VALU_DEP_3) | instskip(SKIP_1) | instid1(VALU_DEP_4)
	v_mad_co_u64_u32 v[5:6], null, s0, v27, 0
	v_add_co_u32 v3, vcc_lo, v23, v3
	v_and_b32_e32 v32, 0xffff, v59
	s_delay_alu instid0(VALU_DEP_4)
	v_sub_nc_u16 v60, v30, v1
	s_wait_alu 0xfffd
	v_add_co_ci_u32_e32 v4, vcc_lo, v24, v4, vcc_lo
	v_lshlrev_b64_e32 v[23:24], 4, v[25:26]
	v_mad_co_u64_u32 v[25:26], null, s0, v32, 0
	v_and_b32_e32 v34, 0xffff, v60
	v_mul_lo_u32 v1, s2, v53
	s_mov_b32 s13, 0xbfebb67a
	s_delay_alu instid0(VALU_DEP_4) | instskip(SKIP_3) | instid1(VALU_DEP_4)
	v_add_co_u32 v33, vcc_lo, s10, v23
	s_wait_alu 0xfffd
	v_add_co_ci_u32_e32 v35, vcc_lo, s11, v24, vcc_lo
	v_mov_b32_e32 v23, v26
	v_lshlrev_b64_e32 v[30:31], 4, v[1:2]
	v_mul_lo_u32 v1, s2, v55
	s_delay_alu instid0(VALU_DEP_3) | instskip(NEXT) | instid1(VALU_DEP_3)
	v_mad_co_u64_u32 v[23:24], null, s1, v32, v[23:24]
	v_add_co_u32 v30, vcc_lo, v33, v30
	s_wait_alu 0xfffd
	s_delay_alu instid0(VALU_DEP_4) | instskip(NEXT) | instid1(VALU_DEP_4)
	v_add_co_ci_u32_e32 v31, vcc_lo, v35, v31, vcc_lo
	v_lshlrev_b64_e32 v[32:33], 4, v[1:2]
	v_mul_lo_u32 v1, s2, v57
	v_mov_b32_e32 v26, v23
	s_wait_loadcnt 0x3
	v_mad_co_u64_u32 v[27:28], null, s1, v27, v[6:7]
	v_mad_co_u64_u32 v[28:29], null, s0, v34, 0
	s_delay_alu instid0(VALU_DEP_2) | instskip(NEXT) | instid1(VALU_DEP_2)
	v_mov_b32_e32 v6, v27
	v_mov_b32_e32 v24, v29
	s_delay_alu instid0(VALU_DEP_2) | instskip(NEXT) | instid1(VALU_DEP_2)
	v_lshlrev_b64_e32 v[5:6], 4, v[5:6]
	v_mad_co_u64_u32 v[34:35], null, s1, v34, v[24:25]
	s_delay_alu instid0(VALU_DEP_2) | instskip(SKIP_1) | instid1(VALU_DEP_3)
	v_add_co_u32 v23, vcc_lo, s10, v5
	s_wait_alu 0xfffd
	v_add_co_ci_u32_e32 v24, vcc_lo, s11, v6, vcc_lo
	s_delay_alu instid0(VALU_DEP_3) | instskip(NEXT) | instid1(VALU_DEP_3)
	v_mov_b32_e32 v29, v34
	v_add_co_u32 v32, vcc_lo, v23, v32
	v_lshlrev_b64_e32 v[5:6], 4, v[25:26]
	s_wait_alu 0xfffd
	v_add_co_ci_u32_e32 v33, vcc_lo, v24, v33, vcc_lo
	v_lshlrev_b64_e32 v[23:24], 4, v[1:2]
	v_mul_lo_u32 v1, s2, v58
	v_lshlrev_b64_e32 v[25:26], 4, v[28:29]
	v_add_co_u32 v27, vcc_lo, s10, v5
	s_wait_alu 0xfffd
	v_add_co_ci_u32_e32 v28, vcc_lo, s11, v6, vcc_lo
	s_delay_alu instid0(VALU_DEP_3)
	v_add_co_u32 v25, vcc_lo, s10, v25
	v_lshlrev_b64_e32 v[5:6], 4, v[1:2]
	s_wait_alu 0xfffd
	v_add_co_ci_u32_e32 v26, vcc_lo, s11, v26, vcc_lo
	v_add_co_u32 v35, vcc_lo, v27, v23
	s_wait_alu 0xfffd
	v_add_co_ci_u32_e32 v36, vcc_lo, v28, v24, vcc_lo
	v_add_co_u32 v5, vcc_lo, v25, v5
	s_wait_alu 0xfffd
	v_add_co_ci_u32_e32 v6, vcc_lo, v26, v6, vcc_lo
	s_clause 0x4
	global_load_b128 v[23:26], v[3:4], off
	global_load_b128 v[27:30], v[30:31], off
	;; [unrolled: 1-line block ×5, first 2 shown]
	v_lshrrev_b32_e32 v1, 3, v0
	v_and_b32_e32 v4, 7, v0
	v_lshlrev_b16 v3, 3, v44
	v_cmp_gt_u32_e32 vcc_lo, 0x288, v0
	v_lshlrev_b16 v44, 3, v50
	v_lshlrev_b32_e32 v5, 7, v1
	v_lshlrev_b32_e32 v6, 4, v4
	v_or_b32_e32 v43, v3, v43
	v_lshlrev_b16 v50, 3, v52
	v_lshlrev_b16 v52, 3, v56
	;; [unrolled: 1-line block ×3, first 2 shown]
	v_add3_u32 v3, 0, v5, v6
	v_and_b32_e32 v5, 0xffff, v43
	v_lshlrev_b16 v43, 3, v49
	v_lshlrev_b16 v49, 3, v51
	;; [unrolled: 1-line block ×4, first 2 shown]
	v_or_b32_e32 v44, v44, v46
	v_or_b32_e32 v43, v43, v45
	;; [unrolled: 1-line block ×3, first 2 shown]
	v_add_nc_u16 v46, v50, v48
	v_or_b32_e32 v47, v51, v53
	v_add_nc_u16 v48, v52, v55
	v_add_nc_u16 v49, v54, v57
	;; [unrolled: 1-line block ×3, first 2 shown]
	v_and_b32_e32 v43, 0xffff, v43
	v_and_b32_e32 v44, 0xffff, v44
	;; [unrolled: 1-line block ×4, first 2 shown]
	v_lshl_add_u32 v5, v5, 4, 0
	v_and_b32_e32 v47, 0xffff, v47
	v_and_b32_e32 v48, 0xffff, v48
	;; [unrolled: 1-line block ×4, first 2 shown]
	v_lshl_add_u32 v43, v43, 4, 0
	v_lshl_add_u32 v44, v44, 4, 0
	;; [unrolled: 1-line block ×3, first 2 shown]
	s_clause 0x1
	s_load_b128 s[0:3], s[20:21], 0x0
	s_load_b64 s[6:7], s[6:7], 0x0
	v_lshl_add_u32 v46, v46, 4, 0
	s_wait_kmcnt 0x0
	s_load_b32 s3, s[20:21], 0x10
	v_lshl_add_u32 v47, v47, 4, 0
	v_lshl_add_u32 v48, v48, 4, 0
	;; [unrolled: 1-line block ×4, first 2 shown]
	s_mov_b32 s10, 0xe8584caa
	s_mov_b32 s11, 0x3febb67a
	s_wait_alu 0xfffe
	s_mov_b32 s12, s10
	v_mul_lo_u16 v71, 0x56, v1
	v_or_b32_e32 v4, s19, v4
	ds_store_b128 v5, v[7:10]
	s_wait_loadcnt 0x7
	ds_store_b128 v43, v[11:14]
	s_wait_loadcnt 0x6
	;; [unrolled: 2-line block ×8, first 2 shown]
	ds_store_b128 v50, v[39:42]
	global_wb scope:SCOPE_SE
	s_wait_dscnt 0x0
	s_wait_kmcnt 0x0
	s_barrier_signal -1
	s_barrier_wait -1
	global_inv scope:SCOPE_SE
	ds_load_b128 v[7:10], v3 offset:10368
	ds_load_b128 v[11:14], v3 offset:20736
	;; [unrolled: 1-line block ×7, first 2 shown]
	ds_load_b128 v[35:38], v3
	ds_load_b128 v[39:42], v3 offset:3456
	v_add_nc_u32_e32 v5, 54, v1
	v_lshrrev_b16 v73, 8, v71
	global_wb scope:SCOPE_SE
	s_wait_dscnt 0x0
	s_barrier_signal -1
	s_barrier_wait -1
	global_inv scope:SCOPE_SE
	v_mul_lo_u16 v80, v5, 57
	v_mul_lo_u16 v82, v5, 19
	s_mul_i32 s8, s18, s2
	s_delay_alu instid0(VALU_DEP_2) | instskip(NEXT) | instid1(VALU_DEP_2)
	v_lshrrev_b16 v80, 9, v80
	v_lshrrev_b16 v82, 9, v82
	v_add_f64_e32 v[43:44], v[7:8], v[11:12]
	v_add_f64_e32 v[45:46], v[9:10], v[13:14]
	;; [unrolled: 1-line block ×12, first 2 shown]
	v_add_f64_e64 v[57:58], v[9:10], -v[13:14]
	v_add_f64_e64 v[69:70], v[23:24], -v[27:28]
	v_fma_f64 v[35:36], v[43:44], -0.5, v[35:36]
	v_add_f64_e64 v[43:44], v[7:8], -v[11:12]
	v_fma_f64 v[37:38], v[45:46], -0.5, v[37:38]
	;; [unrolled: 2-line block ×5, first 2 shown]
	v_fma_f64 v[53:54], v[53:54], -0.5, v[33:34]
	v_add_f64_e32 v[8:9], v[55:56], v[11:12]
	v_add_f64_e32 v[10:11], v[59:60], v[13:14]
	;; [unrolled: 1-line block ×6, first 2 shown]
	v_add_nc_u32_e32 v7, 27, v1
	v_lshl_add_u32 v68, v1, 8, v3
	s_delay_alu instid0(VALU_DEP_2) | instskip(SKIP_2) | instid1(VALU_DEP_3)
	v_mul_lo_u16 v72, 0x56, v7
	v_mul_lo_u16 v79, v7, 57
	;; [unrolled: 1-line block ×3, first 2 shown]
	v_lshrrev_b16 v72, 8, v72
	s_delay_alu instid0(VALU_DEP_3) | instskip(NEXT) | instid1(VALU_DEP_3)
	v_lshrrev_b16 v79, 9, v79
	v_lshrrev_b16 v81, 9, v81
	v_fma_f64 v[20:21], v[57:58], s[10:11], v[35:36]
	v_fma_f64 v[24:25], v[57:58], s[12:13], v[35:36]
	;; [unrolled: 1-line block ×12, first 2 shown]
	v_mul_lo_u16 v44, 0x56, v5
	v_mul_lo_u16 v45, v73, 3
	v_and_b32_e32 v73, 0xffff, v73
	s_delay_alu instid0(VALU_DEP_3) | instskip(SKIP_1) | instid1(VALU_DEP_4)
	v_lshrrev_b16 v74, 8, v44
	v_mul_lo_u16 v44, v72, 3
	v_sub_nc_u16 v45, v1, v45
	s_delay_alu instid0(VALU_DEP_3) | instskip(NEXT) | instid1(VALU_DEP_3)
	v_mul_lo_u16 v46, v74, 3
	v_sub_nc_u16 v44, v7, v44
	s_delay_alu instid0(VALU_DEP_3) | instskip(NEXT) | instid1(VALU_DEP_3)
	v_and_b32_e32 v75, 0xff, v45
	v_sub_nc_u16 v45, v5, v46
	s_delay_alu instid0(VALU_DEP_3) | instskip(NEXT) | instid1(VALU_DEP_3)
	v_and_b32_e32 v76, 0xff, v44
	v_lshlrev_b32_e32 v46, 5, v75
	v_add_nc_u32_e32 v44, 0x5000, v68
	ds_store_b128 v68, v[16:19] offset:20736
	ds_store_b128 v68, v[8:11]
	ds_store_b128 v68, v[20:23] offset:128
	ds_store_b128 v68, v[24:27] offset:256
	;; [unrolled: 1-line block ×5, first 2 shown]
	ds_store_2addr_b64 v44, v[36:37], v[40:41] offset0:48 offset1:49
	ds_store_2addr_b64 v44, v[38:39], v[42:43] offset0:64 offset1:65
	v_and_b32_e32 v77, 0xff, v45
	v_lshlrev_b32_e32 v45, 5, v76
	global_wb scope:SCOPE_SE
	s_wait_dscnt 0x0
	s_barrier_signal -1
	s_barrier_wait -1
	global_inv scope:SCOPE_SE
	s_clause 0x1
	global_load_b128 v[8:11], v46, s[4:5]
	global_load_b128 v[12:15], v46, s[4:5] offset:16
	v_lshlrev_b32_e32 v28, 5, v77
	s_clause 0x3
	global_load_b128 v[16:19], v45, s[4:5]
	global_load_b128 v[20:23], v45, s[4:5] offset:16
	global_load_b128 v[24:27], v28, s[4:5]
	global_load_b128 v[28:31], v28, s[4:5] offset:16
	ds_load_b128 v[32:35], v3 offset:10368
	ds_load_b128 v[36:39], v3 offset:20736
	;; [unrolled: 1-line block ×6, first 2 shown]
	s_wait_loadcnt_dscnt 0x505
	v_mul_f64_e32 v[56:57], v[34:35], v[10:11]
	s_wait_loadcnt_dscnt 0x404
	v_mul_f64_e32 v[58:59], v[38:39], v[14:15]
	v_mul_f64_e32 v[10:11], v[32:33], v[10:11]
	v_mul_f64_e32 v[14:15], v[36:37], v[14:15]
	s_wait_loadcnt_dscnt 0x303
	v_mul_f64_e32 v[60:61], v[42:43], v[18:19]
	s_wait_loadcnt_dscnt 0x202
	v_mul_f64_e32 v[62:63], v[46:47], v[22:23]
	v_mul_f64_e32 v[18:19], v[40:41], v[18:19]
	v_mul_f64_e32 v[22:23], v[44:45], v[22:23]
	;; [unrolled: 6-line block ×3, first 2 shown]
	v_fma_f64 v[32:33], v[32:33], v[8:9], -v[56:57]
	v_fma_f64 v[36:37], v[36:37], v[12:13], -v[58:59]
	v_fma_f64 v[34:35], v[34:35], v[8:9], v[10:11]
	v_fma_f64 v[38:39], v[38:39], v[12:13], v[14:15]
	v_fma_f64 v[40:41], v[40:41], v[16:17], -v[60:61]
	v_fma_f64 v[44:45], v[44:45], v[20:21], -v[62:63]
	v_fma_f64 v[42:43], v[42:43], v[16:17], v[18:19]
	v_fma_f64 v[22:23], v[46:47], v[20:21], v[22:23]
	;; [unrolled: 4-line block ×3, first 2 shown]
	v_lshlrev_b32_e32 v8, 8, v7
	v_add_nc_u32_e32 v9, 0x2880, v68
	v_lshlrev_b32_e32 v14, 8, v5
	v_add_nc_u32_e32 v15, 0x5100, v68
	ds_load_b128 v[10:13], v3
	v_sub_nc_u32_e32 v9, v9, v8
	v_sub_nc_u32_e32 v8, v15, v14
	ds_load_b128 v[14:17], v9
	ds_load_2addr_b64 v[18:21], v8 offset1:1
	global_wb scope:SCOPE_SE
	s_wait_dscnt 0x0
	s_barrier_signal -1
	s_barrier_wait -1
	global_inv scope:SCOPE_SE
	v_add_f64_e32 v[58:59], v[10:11], v[32:33]
	v_add_f64_e32 v[28:29], v[32:33], v[36:37]
	v_add_f64_e64 v[32:33], v[32:33], -v[36:37]
	v_add_f64_e32 v[30:31], v[34:35], v[38:39]
	v_add_f64_e64 v[60:61], v[34:35], -v[38:39]
	v_add_f64_e32 v[50:51], v[40:41], v[44:45]
	v_add_f64_e32 v[34:35], v[12:13], v[34:35]
	;; [unrolled: 1-line block ×8, first 2 shown]
	v_add_f64_e64 v[42:43], v[42:43], -v[22:23]
	v_add_f64_e64 v[40:41], v[40:41], -v[44:45]
	v_add_f64_e32 v[66:67], v[18:19], v[46:47]
	v_add_f64_e64 v[70:71], v[24:25], -v[26:27]
	v_add_f64_e64 v[46:47], v[46:47], -v[48:49]
	v_fma_f64 v[28:29], v[28:29], -0.5, v[10:11]
	v_mul_lo_u16 v10, v1, 29
	v_fma_f64 v[30:31], v[30:31], -0.5, v[12:13]
	v_fma_f64 v[50:51], v[50:51], -0.5, v[14:15]
	v_add_f64_e32 v[12:13], v[34:35], v[38:39]
	v_fma_f64 v[52:53], v[52:53], -0.5, v[16:17]
	v_lshrrev_b16 v78, 8, v10
	v_fma_f64 v[54:55], v[54:55], -0.5, v[18:19]
	v_add_f64_e32 v[10:11], v[58:59], v[36:37]
	v_fma_f64 v[56:57], v[56:57], -0.5, v[20:21]
	v_add_f64_e32 v[16:17], v[64:65], v[22:23]
	v_add_f64_e32 v[20:21], v[68:69], v[26:27]
	;; [unrolled: 1-line block ×4, first 2 shown]
	v_and_b32_e32 v48, 0xffff, v72
	v_mul_lo_u16 v49, v79, 9
	s_delay_alu instid0(VALU_DEP_2)
	v_mul_u32_u24_e32 v48, 9, v48
	v_fma_f64 v[22:23], v[60:61], s[10:11], v[28:29]
	v_fma_f64 v[26:27], v[60:61], s[12:13], v[28:29]
	;; [unrolled: 1-line block ×12, first 2 shown]
	v_mul_lo_u16 v46, v78, 9
	v_mul_u32_u24_e32 v47, 9, v73
	v_and_b32_e32 v50, 0xffff, v74
	v_mul_lo_u16 v51, v80, 9
	v_and_b32_e32 v78, 0xffff, v78
	v_sub_nc_u16 v46, v1, v46
	v_add_lshl_u32 v47, v47, v75, 7
	s_delay_alu instid0(VALU_DEP_2)
	v_and_b32_e32 v74, 0xff, v46
	v_sub_nc_u16 v46, v7, v49
	v_mul_u32_u24_e32 v49, 9, v50
	v_sub_nc_u16 v50, v5, v51
	v_add3_u32 v47, 0, v47, v6
	v_lshlrev_b32_e32 v51, 5, v74
	v_and_b32_e32 v75, 0xff, v46
	v_add_lshl_u32 v46, v48, v76, 7
	v_add_lshl_u32 v48, v49, v77, 7
	v_and_b32_e32 v76, 0xff, v50
	s_delay_alu instid0(VALU_DEP_4) | instskip(NEXT) | instid1(VALU_DEP_4)
	v_lshlrev_b32_e32 v49, 5, v75
	v_add3_u32 v46, 0, v46, v6
	s_delay_alu instid0(VALU_DEP_4)
	v_add3_u32 v48, 0, v48, v6
	ds_store_b128 v47, v[10:13]
	ds_store_b128 v47, v[22:25] offset:384
	ds_store_b128 v47, v[26:29] offset:768
	ds_store_b128 v46, v[14:17]
	ds_store_b128 v46, v[30:33] offset:384
	ds_store_b128 v46, v[34:37] offset:768
	;; [unrolled: 3-line block ×3, first 2 shown]
	global_wb scope:SCOPE_SE
	s_wait_dscnt 0x0
	s_barrier_signal -1
	s_barrier_wait -1
	global_inv scope:SCOPE_SE
	s_clause 0x1
	global_load_b128 v[10:13], v51, s[4:5] offset:96
	global_load_b128 v[14:17], v51, s[4:5] offset:112
	v_lshlrev_b32_e32 v30, 5, v76
	s_clause 0x3
	global_load_b128 v[18:21], v49, s[4:5] offset:96
	global_load_b128 v[22:25], v49, s[4:5] offset:112
	;; [unrolled: 1-line block ×4, first 2 shown]
	ds_load_b128 v[34:37], v3 offset:10368
	ds_load_b128 v[38:41], v3 offset:20736
	;; [unrolled: 1-line block ×6, first 2 shown]
	s_wait_loadcnt_dscnt 0x505
	v_mul_f64_e32 v[58:59], v[36:37], v[12:13]
	s_wait_loadcnt_dscnt 0x404
	v_mul_f64_e32 v[60:61], v[40:41], v[16:17]
	v_mul_f64_e32 v[12:13], v[34:35], v[12:13]
	v_mul_f64_e32 v[16:17], v[38:39], v[16:17]
	s_wait_loadcnt_dscnt 0x303
	v_mul_f64_e32 v[62:63], v[44:45], v[20:21]
	s_wait_loadcnt_dscnt 0x202
	v_mul_f64_e32 v[64:65], v[48:49], v[24:25]
	v_mul_f64_e32 v[20:21], v[42:43], v[20:21]
	v_mul_f64_e32 v[24:25], v[46:47], v[24:25]
	;; [unrolled: 6-line block ×3, first 2 shown]
	v_fma_f64 v[34:35], v[34:35], v[10:11], -v[58:59]
	v_fma_f64 v[38:39], v[38:39], v[14:15], -v[60:61]
	v_fma_f64 v[36:37], v[36:37], v[10:11], v[12:13]
	v_fma_f64 v[40:41], v[40:41], v[14:15], v[16:17]
	v_fma_f64 v[42:43], v[42:43], v[18:19], -v[62:63]
	v_fma_f64 v[46:47], v[46:47], v[22:23], -v[64:65]
	v_fma_f64 v[44:45], v[44:45], v[18:19], v[20:21]
	v_fma_f64 v[22:23], v[48:49], v[22:23], v[24:25]
	;; [unrolled: 4-line block ×3, first 2 shown]
	ds_load_b128 v[10:13], v3
	ds_load_b128 v[14:17], v9
	ds_load_2addr_b64 v[18:21], v8 offset1:1
	global_wb scope:SCOPE_SE
	s_wait_dscnt 0x0
	s_barrier_signal -1
	s_barrier_wait -1
	global_inv scope:SCOPE_SE
	v_add_f64_e32 v[58:59], v[10:11], v[34:35]
	v_add_f64_e32 v[30:31], v[34:35], v[38:39]
	v_add_f64_e64 v[34:35], v[34:35], -v[38:39]
	v_add_f64_e32 v[32:33], v[36:37], v[40:41]
	v_add_f64_e64 v[60:61], v[36:37], -v[40:41]
	v_add_f64_e32 v[50:51], v[42:43], v[46:47]
	v_add_f64_e32 v[36:37], v[12:13], v[36:37]
	;; [unrolled: 1-line block ×8, first 2 shown]
	v_add_f64_e64 v[44:45], v[44:45], -v[22:23]
	v_add_f64_e64 v[42:43], v[42:43], -v[46:47]
	v_add_f64_e32 v[66:67], v[18:19], v[24:25]
	v_add_f64_e64 v[70:71], v[26:27], -v[28:29]
	v_add_f64_e64 v[72:73], v[24:25], -v[48:49]
	v_fma_f64 v[30:31], v[30:31], -0.5, v[10:11]
	v_mul_lo_u16 v10, v1, 19
	v_fma_f64 v[32:33], v[32:33], -0.5, v[12:13]
	v_fma_f64 v[50:51], v[50:51], -0.5, v[14:15]
	v_add_f64_e32 v[12:13], v[36:37], v[40:41]
	v_fma_f64 v[52:53], v[52:53], -0.5, v[16:17]
	v_lshrrev_b16 v77, 9, v10
	v_fma_f64 v[54:55], v[54:55], -0.5, v[18:19]
	v_add_f64_e32 v[10:11], v[58:59], v[38:39]
	v_fma_f64 v[56:57], v[56:57], -0.5, v[20:21]
	v_add_f64_e32 v[16:17], v[64:65], v[22:23]
	v_add_f64_e32 v[20:21], v[68:69], v[28:29]
	v_add_f64_e32 v[14:15], v[62:63], v[46:47]
	v_add_f64_e32 v[18:19], v[66:67], v[48:49]
	v_mul_lo_u16 v46, v77, 27
	v_and_b32_e32 v48, 0xffff, v79
	v_mul_lo_u16 v49, v81, 27
	v_mul_u32_u24_e32 v47, 27, v78
	s_delay_alu instid0(VALU_DEP_4) | instskip(NEXT) | instid1(VALU_DEP_4)
	v_sub_nc_u16 v46, v1, v46
	v_mul_u32_u24_e32 v48, 27, v48
	s_delay_alu instid0(VALU_DEP_3) | instskip(NEXT) | instid1(VALU_DEP_3)
	v_add_lshl_u32 v47, v47, v74, 7
	v_and_b32_e32 v78, 0xff, v46
	v_sub_nc_u16 v46, v7, v49
	s_delay_alu instid0(VALU_DEP_3) | instskip(NEXT) | instid1(VALU_DEP_2)
	v_add3_u32 v47, 0, v47, v6
	v_and_b32_e32 v74, 0xff, v46
	v_add_lshl_u32 v46, v48, v75, 7
	s_delay_alu instid0(VALU_DEP_1)
	v_add3_u32 v46, 0, v46, v6
	v_fma_f64 v[22:23], v[60:61], s[10:11], v[30:31]
	v_fma_f64 v[26:27], v[60:61], s[12:13], v[30:31]
	v_fma_f64 v[24:25], v[34:35], s[12:13], v[32:33]
	v_fma_f64 v[28:29], v[34:35], s[10:11], v[32:33]
	v_fma_f64 v[30:31], v[44:45], s[10:11], v[50:51]
	v_fma_f64 v[34:35], v[44:45], s[12:13], v[50:51]
	v_fma_f64 v[32:33], v[42:43], s[12:13], v[52:53]
	v_fma_f64 v[36:37], v[42:43], s[10:11], v[52:53]
	v_fma_f64 v[38:39], v[70:71], s[10:11], v[54:55]
	v_fma_f64 v[42:43], v[70:71], s[12:13], v[54:55]
	v_fma_f64 v[40:41], v[72:73], s[12:13], v[56:57]
	v_fma_f64 v[44:45], v[72:73], s[10:11], v[56:57]
	v_and_b32_e32 v50, 0xffff, v80
	v_mul_lo_u16 v51, v82, 27
	s_delay_alu instid0(VALU_DEP_2) | instskip(NEXT) | instid1(VALU_DEP_2)
	v_mul_u32_u24_e32 v49, 27, v50
	v_sub_nc_u16 v50, v5, v51
	v_lshlrev_b32_e32 v51, 5, v78
	s_delay_alu instid0(VALU_DEP_3) | instskip(NEXT) | instid1(VALU_DEP_3)
	v_add_lshl_u32 v48, v49, v76, 7
	v_and_b32_e32 v75, 0xff, v50
	v_lshlrev_b32_e32 v49, 5, v74
	v_subrev_nc_u32_e32 v76, 54, v1
	s_delay_alu instid0(VALU_DEP_4)
	v_add3_u32 v48, 0, v48, v6
	ds_store_b128 v47, v[10:13]
	ds_store_b128 v47, v[22:25] offset:1152
	ds_store_b128 v47, v[26:29] offset:2304
	ds_store_b128 v46, v[14:17]
	ds_store_b128 v46, v[30:33] offset:1152
	ds_store_b128 v46, v[34:37] offset:2304
	;; [unrolled: 3-line block ×3, first 2 shown]
	global_wb scope:SCOPE_SE
	s_wait_dscnt 0x0
	s_barrier_signal -1
	s_barrier_wait -1
	global_inv scope:SCOPE_SE
	s_clause 0x1
	global_load_b128 v[10:13], v51, s[4:5] offset:384
	global_load_b128 v[14:17], v51, s[4:5] offset:400
	v_lshlrev_b32_e32 v30, 5, v75
	s_clause 0x3
	global_load_b128 v[18:21], v49, s[4:5] offset:384
	global_load_b128 v[22:25], v49, s[4:5] offset:400
	;; [unrolled: 1-line block ×4, first 2 shown]
	ds_load_b128 v[34:37], v3 offset:10368
	ds_load_b128 v[38:41], v3 offset:20736
	;; [unrolled: 1-line block ×6, first 2 shown]
	s_wait_loadcnt_dscnt 0x505
	v_mul_f64_e32 v[58:59], v[36:37], v[12:13]
	s_wait_loadcnt_dscnt 0x404
	v_mul_f64_e32 v[60:61], v[40:41], v[16:17]
	v_mul_f64_e32 v[12:13], v[34:35], v[12:13]
	v_mul_f64_e32 v[16:17], v[38:39], v[16:17]
	s_wait_loadcnt_dscnt 0x303
	v_mul_f64_e32 v[62:63], v[44:45], v[20:21]
	s_wait_loadcnt_dscnt 0x202
	v_mul_f64_e32 v[64:65], v[48:49], v[24:25]
	v_mul_f64_e32 v[20:21], v[42:43], v[20:21]
	v_mul_f64_e32 v[24:25], v[46:47], v[24:25]
	;; [unrolled: 6-line block ×3, first 2 shown]
	v_fma_f64 v[34:35], v[34:35], v[10:11], -v[58:59]
	v_fma_f64 v[38:39], v[38:39], v[14:15], -v[60:61]
	v_fma_f64 v[36:37], v[36:37], v[10:11], v[12:13]
	v_fma_f64 v[40:41], v[40:41], v[14:15], v[16:17]
	v_fma_f64 v[42:43], v[42:43], v[18:19], -v[62:63]
	v_fma_f64 v[46:47], v[46:47], v[22:23], -v[64:65]
	v_fma_f64 v[44:45], v[44:45], v[18:19], v[20:21]
	v_fma_f64 v[22:23], v[48:49], v[22:23], v[24:25]
	;; [unrolled: 4-line block ×3, first 2 shown]
	ds_load_b128 v[10:13], v3
	ds_load_b128 v[14:17], v9
	ds_load_2addr_b64 v[18:21], v8 offset1:1
	global_wb scope:SCOPE_SE
	s_wait_dscnt 0x0
	s_barrier_signal -1
	s_barrier_wait -1
	global_inv scope:SCOPE_SE
	v_add_f64_e32 v[58:59], v[10:11], v[34:35]
	v_add_f64_e32 v[30:31], v[34:35], v[38:39]
	v_add_f64_e64 v[34:35], v[34:35], -v[38:39]
	v_add_f64_e32 v[32:33], v[36:37], v[40:41]
	v_add_f64_e64 v[60:61], v[36:37], -v[40:41]
	v_add_f64_e32 v[50:51], v[42:43], v[46:47]
	v_add_f64_e32 v[36:37], v[12:13], v[36:37]
	;; [unrolled: 1-line block ×8, first 2 shown]
	v_add_f64_e64 v[44:45], v[44:45], -v[22:23]
	v_add_f64_e64 v[42:43], v[42:43], -v[46:47]
	v_add_f64_e32 v[66:67], v[18:19], v[24:25]
	v_add_f64_e64 v[70:71], v[26:27], -v[28:29]
	v_add_f64_e64 v[72:73], v[24:25], -v[48:49]
	v_fma_f64 v[30:31], v[30:31], -0.5, v[10:11]
	v_mul_lo_u16 v10, v5, 51
	v_fma_f64 v[32:33], v[32:33], -0.5, v[12:13]
	v_add_nc_u32_e32 v11, 0xffffffaf, v1
	v_fma_f64 v[50:51], v[50:51], -0.5, v[14:15]
	v_add_f64_e32 v[12:13], v[36:37], v[40:41]
	v_fma_f64 v[52:53], v[52:53], -0.5, v[16:17]
	v_lshrrev_b16 v79, 12, v10
	v_fma_f64 v[54:55], v[54:55], -0.5, v[18:19]
	v_cndmask_b32_e32 v80, v11, v1, vcc_lo
	v_fma_f64 v[56:57], v[56:57], -0.5, v[20:21]
	v_add_f64_e32 v[10:11], v[58:59], v[38:39]
	v_add_f64_e32 v[16:17], v[64:65], v[22:23]
	;; [unrolled: 1-line block ×5, first 2 shown]
	v_and_b32_e32 v1, 0xffff, v77
	v_and_b32_e32 v77, 0xffff, v81
	;; [unrolled: 1-line block ×3, first 2 shown]
	v_mul_lo_u16 v82, 0x51, v79
	v_cmp_gt_u32_e32 vcc_lo, 0x1b0, v0
	v_mul_u32_u24_e32 v46, 0x51, v1
	v_mul_u32_u24_e32 v49, 0x51, v77
	v_lshlrev_b32_e32 v1, 1, v80
	v_sub_nc_u16 v47, v5, v82
	s_wait_alu 0xfffd
	v_cndmask_b32_e32 v48, v76, v7, vcc_lo
	v_add_lshl_u32 v49, v49, v74, 7
	v_fma_f64 v[22:23], v[60:61], s[10:11], v[30:31]
	v_fma_f64 v[26:27], v[60:61], s[12:13], v[30:31]
	v_fma_f64 v[24:25], v[34:35], s[12:13], v[32:33]
	v_fma_f64 v[28:29], v[34:35], s[10:11], v[32:33]
	v_fma_f64 v[30:31], v[44:45], s[10:11], v[50:51]
	v_fma_f64 v[34:35], v[44:45], s[12:13], v[50:51]
	v_fma_f64 v[32:33], v[42:43], s[12:13], v[52:53]
	v_fma_f64 v[36:37], v[42:43], s[10:11], v[52:53]
	v_fma_f64 v[38:39], v[70:71], s[10:11], v[54:55]
	v_fma_f64 v[42:43], v[70:71], s[12:13], v[54:55]
	v_fma_f64 v[40:41], v[72:73], s[12:13], v[56:57]
	v_fma_f64 v[44:45], v[72:73], s[10:11], v[56:57]
	v_add_lshl_u32 v51, v46, v78, 7
	v_lshlrev_b16 v52, 1, v47
	v_lshlrev_b64_e32 v[46:47], 4, v[1:2]
	v_lshlrev_b32_e32 v1, 1, v48
	v_mul_u32_u24_e32 v50, 0x51, v81
	v_add3_u32 v53, 0, v49, v6
	v_add3_u32 v51, 0, v51, v6
	v_and_b32_e32 v52, 0xfe, v52
	v_lshlrev_b64_e32 v[48:49], 4, v[1:2]
	v_add_co_u32 v46, vcc_lo, s4, v46
	v_add_lshl_u32 v50, v50, v75, 7
	s_wait_alu 0xfffd
	v_add_co_ci_u32_e32 v47, vcc_lo, s5, v47, vcc_lo
	s_delay_alu instid0(VALU_DEP_4) | instskip(NEXT) | instid1(VALU_DEP_3)
	v_add_co_u32 v48, vcc_lo, s4, v48
	v_add3_u32 v6, 0, v50, v6
	s_wait_alu 0xfffd
	v_add_co_ci_u32_e32 v49, vcc_lo, s5, v49, vcc_lo
	ds_store_b128 v51, v[10:13]
	ds_store_b128 v51, v[22:25] offset:3456
	ds_store_b128 v51, v[26:29] offset:6912
	ds_store_b128 v53, v[14:17]
	ds_store_b128 v53, v[30:33] offset:3456
	ds_store_b128 v53, v[34:37] offset:6912
	;; [unrolled: 3-line block ×3, first 2 shown]
	global_wb scope:SCOPE_SE
	s_wait_dscnt 0x0
	s_barrier_signal -1
	s_barrier_wait -1
	global_inv scope:SCOPE_SE
	s_clause 0x1
	global_load_b128 v[10:13], v[46:47], off offset:1248
	global_load_b128 v[14:17], v[46:47], off offset:1264
	v_lshlrev_b32_e32 v1, 4, v52
	s_clause 0x3
	global_load_b128 v[18:21], v[48:49], off offset:1248
	global_load_b128 v[22:25], v[48:49], off offset:1264
	global_load_b128 v[26:29], v1, s[4:5] offset:1248
	global_load_b128 v[30:33], v1, s[4:5] offset:1264
	ds_load_b128 v[34:37], v3 offset:10368
	ds_load_b128 v[38:41], v3 offset:20736
	;; [unrolled: 1-line block ×6, first 2 shown]
	v_cmp_lt_u32_e32 vcc_lo, 0x287, v0
	s_mul_i32 s4, s3, 0x51
	s_wait_alu 0xfffd
	v_cndmask_b32_e64 v1, 0, 0xf3, vcc_lo
	v_cmp_lt_u32_e32 vcc_lo, 0x1af, v0
	s_delay_alu instid0(VALU_DEP_2) | instskip(SKIP_2) | instid1(VALU_DEP_2)
	v_add_nc_u32_e32 v1, v80, v1
	s_wait_alu 0xfffd
	v_cndmask_b32_e64 v0, 0, 0xa2, vcc_lo
	v_mul_lo_u32 v1, v1, s3
	s_delay_alu instid0(VALU_DEP_2)
	v_add_nc_u32_e32 v0, v0, v7
	s_wait_loadcnt_dscnt 0x505
	v_mul_f64_e32 v[58:59], v[36:37], v[12:13]
	v_mul_f64_e32 v[12:13], v[34:35], v[12:13]
	s_wait_loadcnt_dscnt 0x404
	v_mul_f64_e32 v[60:61], v[40:41], v[16:17]
	v_mul_f64_e32 v[16:17], v[38:39], v[16:17]
	s_wait_loadcnt_dscnt 0x303
	v_mul_f64_e32 v[62:63], v[44:45], v[20:21]
	s_wait_loadcnt_dscnt 0x202
	v_mul_f64_e32 v[64:65], v[48:49], v[24:25]
	v_mul_f64_e32 v[20:21], v[42:43], v[20:21]
	;; [unrolled: 1-line block ×3, first 2 shown]
	s_wait_loadcnt_dscnt 0x101
	v_mul_f64_e32 v[66:67], v[52:53], v[28:29]
	s_wait_loadcnt_dscnt 0x0
	v_mul_f64_e32 v[68:69], v[56:57], v[32:33]
	v_mul_f64_e32 v[28:29], v[50:51], v[28:29]
	;; [unrolled: 1-line block ×3, first 2 shown]
	v_fma_f64 v[34:35], v[34:35], v[10:11], -v[58:59]
	v_fma_f64 v[36:37], v[36:37], v[10:11], v[12:13]
	v_fma_f64 v[38:39], v[38:39], v[14:15], -v[60:61]
	v_fma_f64 v[40:41], v[40:41], v[14:15], v[16:17]
	v_fma_f64 v[42:43], v[42:43], v[18:19], -v[62:63]
	v_fma_f64 v[46:47], v[46:47], v[22:23], -v[64:65]
	v_fma_f64 v[18:19], v[44:45], v[18:19], v[20:21]
	v_fma_f64 v[20:21], v[48:49], v[22:23], v[24:25]
	v_fma_f64 v[22:23], v[50:51], v[26:27], -v[66:67]
	v_fma_f64 v[24:25], v[54:55], v[30:31], -v[68:69]
	v_fma_f64 v[26:27], v[52:53], v[26:27], v[28:29]
	v_fma_f64 v[28:29], v[56:57], v[30:31], v[32:33]
	v_lshlrev_b64_e32 v[30:31], 4, v[1:2]
	s_wait_alu 0xfffe
	v_add_nc_u32_e32 v1, s4, v1
	v_mad_co_u64_u32 v[52:53], null, s0, v4, 0
	ds_load_b128 v[10:13], v3
	ds_load_b128 v[14:17], v9
	ds_load_2addr_b64 v[6:9], v8 offset1:1
	v_lshlrev_b64_e32 v[32:33], 4, v[1:2]
	v_add_nc_u32_e32 v1, s4, v1
	v_and_b32_e32 v64, 0xffff, v79
	s_delay_alu instid0(VALU_DEP_2) | instskip(SKIP_2) | instid1(VALU_DEP_2)
	v_lshlrev_b64_e32 v[56:57], 4, v[1:2]
	v_mul_lo_u32 v1, v0, s3
	v_mov_b32_e32 v0, v53
	v_lshlrev_b64_e32 v[62:63], 4, v[1:2]
	v_add_nc_u32_e32 v1, s4, v1
	s_delay_alu instid0(VALU_DEP_1)
	v_mad_co_u64_u32 v[3:4], null, s1, v4, v[0:1]
	v_add_f64_e32 v[44:45], v[34:35], v[38:39]
	v_add_f64_e32 v[48:49], v[36:37], v[40:41]
	v_add_f64_e32 v[50:51], v[42:43], v[46:47]
	v_add_f64_e64 v[68:69], v[36:37], -v[40:41]
	v_add_f64_e32 v[54:55], v[18:19], v[20:21]
	s_wait_dscnt 0x2
	v_add_f64_e32 v[36:37], v[12:13], v[36:37]
	v_add_f64_e32 v[58:59], v[22:23], v[24:25]
	v_mov_b32_e32 v53, v3
	v_add_f64_e32 v[60:61], v[26:27], v[28:29]
	v_add_f64_e32 v[3:4], v[10:11], v[34:35]
	v_add_f64_e64 v[34:35], v[34:35], -v[38:39]
	s_wait_dscnt 0x1
	v_add_f64_e32 v[72:73], v[16:17], v[18:19]
	v_add_f64_e32 v[70:71], v[14:15], v[42:43]
	s_wait_dscnt 0x0
	v_add_f64_e32 v[74:75], v[6:7], v[22:23]
	v_add_f64_e64 v[78:79], v[18:19], -v[20:21]
	v_add_f64_e64 v[42:43], v[42:43], -v[46:47]
	v_add_f64_e32 v[76:77], v[8:9], v[26:27]
	v_add_f64_e64 v[80:81], v[26:27], -v[28:29]
	v_add_f64_e64 v[82:83], v[22:23], -v[24:25]
	v_mad_u32_u24 v0, 0xa2, v64, v5
	v_lshlrev_b64_e32 v[64:65], 4, v[1:2]
	v_add_nc_u32_e32 v1, s4, v1
	s_mul_u64 s[0:1], s[6:7], s[16:17]
	s_wait_alu 0xfffe
	s_lshl_b64 s[0:1], s[0:1], 4
	s_delay_alu instid0(VALU_DEP_1)
	v_lshlrev_b64_e32 v[66:67], 4, v[1:2]
	v_mul_lo_u32 v1, v0, s3
	s_lshl_b64 s[2:3], s[8:9], 4
	s_wait_alu 0xfffe
	s_add_nc_u64 s[0:1], s[14:15], s[0:1]
	s_wait_alu 0xfffe
	s_add_nc_u64 s[0:1], s[0:1], s[2:3]
	v_fma_f64 v[44:45], v[44:45], -0.5, v[10:11]
	v_fma_f64 v[48:49], v[48:49], -0.5, v[12:13]
	v_fma_f64 v[50:51], v[50:51], -0.5, v[14:15]
	v_fma_f64 v[54:55], v[54:55], -0.5, v[16:17]
	v_fma_f64 v[58:59], v[58:59], -0.5, v[6:7]
	v_lshlrev_b64_e32 v[5:6], 4, v[52:53]
	v_fma_f64 v[60:61], v[60:61], -0.5, v[8:9]
	v_add_f64_e32 v[3:4], v[3:4], v[38:39]
	v_lshlrev_b64_e32 v[52:53], 4, v[1:2]
	v_add_f64_e32 v[9:10], v[72:73], v[20:21]
	v_add_f64_e32 v[7:8], v[70:71], v[46:47]
	s_wait_alu 0xfffe
	v_add_co_u32 v90, vcc_lo, s0, v5
	s_wait_alu 0xfffd
	v_add_co_ci_u32_e32 v91, vcc_lo, s1, v6, vcc_lo
	v_add_f64_e32 v[5:6], v[36:37], v[40:41]
	s_delay_alu instid0(VALU_DEP_3) | instskip(SKIP_1) | instid1(VALU_DEP_3)
	v_add_co_u32 v86, vcc_lo, v90, v30
	s_wait_alu 0xfffd
	v_add_co_ci_u32_e32 v87, vcc_lo, v91, v31, vcc_lo
	v_add_f64_e32 v[11:12], v[74:75], v[24:25]
	v_add_co_u32 v88, vcc_lo, v90, v32
	v_add_f64_e32 v[13:14], v[76:77], v[28:29]
	s_wait_alu 0xfffd
	v_add_co_ci_u32_e32 v89, vcc_lo, v91, v33, vcc_lo
	v_add_co_u32 v39, vcc_lo, v90, v56
	v_add_nc_u32_e32 v1, s4, v1
	s_wait_alu 0xfffd
	v_add_co_ci_u32_e32 v40, vcc_lo, v91, v57, vcc_lo
	v_add_co_u32 v41, vcc_lo, v90, v62
	s_delay_alu instid0(VALU_DEP_3)
	v_lshlrev_b64_e32 v[84:85], 4, v[1:2]
	v_add_nc_u32_e32 v1, s4, v1
	v_fma_f64 v[15:16], v[68:69], s[10:11], v[44:45]
	v_fma_f64 v[17:18], v[34:35], s[12:13], v[48:49]
	;; [unrolled: 1-line block ×12, first 2 shown]
	s_wait_alu 0xfffd
	v_add_co_ci_u32_e32 v42, vcc_lo, v91, v63, vcc_lo
	v_add_co_u32 v43, vcc_lo, v90, v64
	s_wait_alu 0xfffd
	v_add_co_ci_u32_e32 v44, vcc_lo, v91, v65, vcc_lo
	v_add_co_u32 v45, vcc_lo, v90, v66
	;; [unrolled: 3-line block ×3, first 2 shown]
	v_lshlrev_b64_e32 v[0:1], 4, v[1:2]
	s_wait_alu 0xfffd
	v_add_co_ci_u32_e32 v48, vcc_lo, v91, v53, vcc_lo
	v_add_co_u32 v49, vcc_lo, v90, v84
	s_wait_alu 0xfffd
	v_add_co_ci_u32_e32 v50, vcc_lo, v91, v85, vcc_lo
	v_add_co_u32 v0, vcc_lo, v90, v0
	s_wait_alu 0xfffd
	v_add_co_ci_u32_e32 v1, vcc_lo, v91, v1, vcc_lo
	s_clause 0x8
	global_store_b128 v[86:87], v[3:6], off
	global_store_b128 v[88:89], v[15:18], off
	;; [unrolled: 1-line block ×9, first 2 shown]
	s_nop 0
	s_sendmsg sendmsg(MSG_DEALLOC_VGPRS)
	s_endpgm
	.section	.rodata,"a",@progbits
	.p2align	6, 0x0
	.amdhsa_kernel fft_rtc_fwd_len243_factors_3_3_3_3_3_wgs_216_tpt_27_dp_op_CI_CI_sbrc_z_xy_aligned_dirReg
		.amdhsa_group_segment_fixed_size 0
		.amdhsa_private_segment_fixed_size 0
		.amdhsa_kernarg_size 104
		.amdhsa_user_sgpr_count 2
		.amdhsa_user_sgpr_dispatch_ptr 0
		.amdhsa_user_sgpr_queue_ptr 0
		.amdhsa_user_sgpr_kernarg_segment_ptr 1
		.amdhsa_user_sgpr_dispatch_id 0
		.amdhsa_user_sgpr_private_segment_size 0
		.amdhsa_wavefront_size32 1
		.amdhsa_uses_dynamic_stack 0
		.amdhsa_enable_private_segment 0
		.amdhsa_system_sgpr_workgroup_id_x 1
		.amdhsa_system_sgpr_workgroup_id_y 0
		.amdhsa_system_sgpr_workgroup_id_z 0
		.amdhsa_system_sgpr_workgroup_info 0
		.amdhsa_system_vgpr_workitem_id 0
		.amdhsa_next_free_vgpr 92
		.amdhsa_next_free_sgpr 26
		.amdhsa_reserve_vcc 1
		.amdhsa_float_round_mode_32 0
		.amdhsa_float_round_mode_16_64 0
		.amdhsa_float_denorm_mode_32 3
		.amdhsa_float_denorm_mode_16_64 3
		.amdhsa_fp16_overflow 0
		.amdhsa_workgroup_processor_mode 1
		.amdhsa_memory_ordered 1
		.amdhsa_forward_progress 0
		.amdhsa_round_robin_scheduling 0
		.amdhsa_exception_fp_ieee_invalid_op 0
		.amdhsa_exception_fp_denorm_src 0
		.amdhsa_exception_fp_ieee_div_zero 0
		.amdhsa_exception_fp_ieee_overflow 0
		.amdhsa_exception_fp_ieee_underflow 0
		.amdhsa_exception_fp_ieee_inexact 0
		.amdhsa_exception_int_div_zero 0
	.end_amdhsa_kernel
	.text
.Lfunc_end0:
	.size	fft_rtc_fwd_len243_factors_3_3_3_3_3_wgs_216_tpt_27_dp_op_CI_CI_sbrc_z_xy_aligned_dirReg, .Lfunc_end0-fft_rtc_fwd_len243_factors_3_3_3_3_3_wgs_216_tpt_27_dp_op_CI_CI_sbrc_z_xy_aligned_dirReg
                                        ; -- End function
	.section	.AMDGPU.csdata,"",@progbits
; Kernel info:
; codeLenInByte = 7036
; NumSgprs: 28
; NumVgprs: 92
; ScratchSize: 0
; MemoryBound: 0
; FloatMode: 240
; IeeeMode: 1
; LDSByteSize: 0 bytes/workgroup (compile time only)
; SGPRBlocks: 3
; VGPRBlocks: 11
; NumSGPRsForWavesPerEU: 28
; NumVGPRsForWavesPerEU: 92
; Occupancy: 16
; WaveLimiterHint : 1
; COMPUTE_PGM_RSRC2:SCRATCH_EN: 0
; COMPUTE_PGM_RSRC2:USER_SGPR: 2
; COMPUTE_PGM_RSRC2:TRAP_HANDLER: 0
; COMPUTE_PGM_RSRC2:TGID_X_EN: 1
; COMPUTE_PGM_RSRC2:TGID_Y_EN: 0
; COMPUTE_PGM_RSRC2:TGID_Z_EN: 0
; COMPUTE_PGM_RSRC2:TIDIG_COMP_CNT: 0
	.text
	.p2alignl 7, 3214868480
	.fill 96, 4, 3214868480
	.type	__hip_cuid_3de2b05f14009b2e,@object ; @__hip_cuid_3de2b05f14009b2e
	.section	.bss,"aw",@nobits
	.globl	__hip_cuid_3de2b05f14009b2e
__hip_cuid_3de2b05f14009b2e:
	.byte	0                               ; 0x0
	.size	__hip_cuid_3de2b05f14009b2e, 1

	.ident	"AMD clang version 19.0.0git (https://github.com/RadeonOpenCompute/llvm-project roc-6.4.0 25133 c7fe45cf4b819c5991fe208aaa96edf142730f1d)"
	.section	".note.GNU-stack","",@progbits
	.addrsig
	.addrsig_sym __hip_cuid_3de2b05f14009b2e
	.amdgpu_metadata
---
amdhsa.kernels:
  - .args:
      - .actual_access:  read_only
        .address_space:  global
        .offset:         0
        .size:           8
        .value_kind:     global_buffer
      - .offset:         8
        .size:           8
        .value_kind:     by_value
      - .actual_access:  read_only
        .address_space:  global
        .offset:         16
        .size:           8
        .value_kind:     global_buffer
      - .actual_access:  read_only
        .address_space:  global
        .offset:         24
        .size:           8
        .value_kind:     global_buffer
      - .actual_access:  read_only
        .address_space:  global
        .offset:         32
        .size:           8
        .value_kind:     global_buffer
      - .offset:         40
        .size:           8
        .value_kind:     by_value
      - .actual_access:  read_only
        .address_space:  global
        .offset:         48
        .size:           8
        .value_kind:     global_buffer
      - .actual_access:  read_only
        .address_space:  global
        .offset:         56
        .size:           8
        .value_kind:     global_buffer
      - .offset:         64
        .size:           4
        .value_kind:     by_value
      - .actual_access:  read_only
        .address_space:  global
        .offset:         72
        .size:           8
        .value_kind:     global_buffer
      - .actual_access:  read_only
        .address_space:  global
        .offset:         80
        .size:           8
        .value_kind:     global_buffer
      - .actual_access:  read_only
        .address_space:  global
        .offset:         88
        .size:           8
        .value_kind:     global_buffer
      - .actual_access:  write_only
        .address_space:  global
        .offset:         96
        .size:           8
        .value_kind:     global_buffer
    .group_segment_fixed_size: 0
    .kernarg_segment_align: 8
    .kernarg_segment_size: 104
    .language:       OpenCL C
    .language_version:
      - 2
      - 0
    .max_flat_workgroup_size: 216
    .name:           fft_rtc_fwd_len243_factors_3_3_3_3_3_wgs_216_tpt_27_dp_op_CI_CI_sbrc_z_xy_aligned_dirReg
    .private_segment_fixed_size: 0
    .sgpr_count:     28
    .sgpr_spill_count: 0
    .symbol:         fft_rtc_fwd_len243_factors_3_3_3_3_3_wgs_216_tpt_27_dp_op_CI_CI_sbrc_z_xy_aligned_dirReg.kd
    .uniform_work_group_size: 1
    .uses_dynamic_stack: false
    .vgpr_count:     92
    .vgpr_spill_count: 0
    .wavefront_size: 32
    .workgroup_processor_mode: 1
amdhsa.target:   amdgcn-amd-amdhsa--gfx1201
amdhsa.version:
  - 1
  - 2
...

	.end_amdgpu_metadata
